;; amdgpu-corpus repo=ROCm/rocFFT kind=compiled arch=gfx1030 opt=O3
	.text
	.amdgcn_target "amdgcn-amd-amdhsa--gfx1030"
	.amdhsa_code_object_version 6
	.protected	fft_rtc_back_len405_factors_5_3_3_3_3_wgs_108_tpt_27_halfLds_half_ip_CI_sbrr_dirReg ; -- Begin function fft_rtc_back_len405_factors_5_3_3_3_3_wgs_108_tpt_27_halfLds_half_ip_CI_sbrr_dirReg
	.globl	fft_rtc_back_len405_factors_5_3_3_3_3_wgs_108_tpt_27_halfLds_half_ip_CI_sbrr_dirReg
	.p2align	8
	.type	fft_rtc_back_len405_factors_5_3_3_3_3_wgs_108_tpt_27_halfLds_half_ip_CI_sbrr_dirReg,@function
fft_rtc_back_len405_factors_5_3_3_3_3_wgs_108_tpt_27_halfLds_half_ip_CI_sbrr_dirReg: ; @fft_rtc_back_len405_factors_5_3_3_3_3_wgs_108_tpt_27_halfLds_half_ip_CI_sbrr_dirReg
; %bb.0:
	s_clause 0x2
	s_load_dwordx2 s[14:15], s[4:5], 0x18
	s_load_dwordx4 s[8:11], s[4:5], 0x0
	s_load_dwordx2 s[12:13], s[4:5], 0x50
	v_mul_u32_u24_e32 v1, 0x97c, v0
	v_mov_b32_e32 v3, 0
	v_lshrrev_b32_e32 v9, 16, v1
	v_mov_b32_e32 v1, 0
	v_mov_b32_e32 v6, v3
	v_mov_b32_e32 v2, 0
	v_lshl_add_u32 v5, s6, 2, v9
	s_waitcnt lgkmcnt(0)
	s_load_dwordx2 s[2:3], s[14:15], 0x0
	v_cmp_lt_u64_e64 s0, s[10:11], 2
	s_and_b32 vcc_lo, exec_lo, s0
	s_cbranch_vccnz .LBB0_8
; %bb.1:
	s_load_dwordx2 s[0:1], s[4:5], 0x10
	v_mov_b32_e32 v1, 0
	s_add_u32 s6, s14, 8
	v_mov_b32_e32 v2, 0
	s_addc_u32 s7, s15, 0
	s_mov_b64 s[18:19], 1
	s_waitcnt lgkmcnt(0)
	s_add_u32 s16, s0, 8
	s_addc_u32 s17, s1, 0
.LBB0_2:                                ; =>This Inner Loop Header: Depth=1
	s_load_dwordx2 s[20:21], s[16:17], 0x0
                                        ; implicit-def: $vgpr7_vgpr8
	s_mov_b32 s0, exec_lo
	s_waitcnt lgkmcnt(0)
	v_or_b32_e32 v4, s21, v6
	v_cmpx_ne_u64_e32 0, v[3:4]
	s_xor_b32 s1, exec_lo, s0
	s_cbranch_execz .LBB0_4
; %bb.3:                                ;   in Loop: Header=BB0_2 Depth=1
	v_cvt_f32_u32_e32 v4, s20
	v_cvt_f32_u32_e32 v7, s21
	s_sub_u32 s0, 0, s20
	s_subb_u32 s22, 0, s21
	v_fmac_f32_e32 v4, 0x4f800000, v7
	v_rcp_f32_e32 v4, v4
	v_mul_f32_e32 v4, 0x5f7ffffc, v4
	v_mul_f32_e32 v7, 0x2f800000, v4
	v_trunc_f32_e32 v7, v7
	v_fmac_f32_e32 v4, 0xcf800000, v7
	v_cvt_u32_f32_e32 v7, v7
	v_cvt_u32_f32_e32 v4, v4
	v_mul_lo_u32 v8, s0, v7
	v_mul_hi_u32 v10, s0, v4
	v_mul_lo_u32 v11, s22, v4
	v_add_nc_u32_e32 v8, v10, v8
	v_mul_lo_u32 v10, s0, v4
	v_add_nc_u32_e32 v8, v8, v11
	v_mul_hi_u32 v11, v4, v10
	v_mul_lo_u32 v12, v4, v8
	v_mul_hi_u32 v13, v4, v8
	v_mul_hi_u32 v14, v7, v10
	v_mul_lo_u32 v10, v7, v10
	v_mul_hi_u32 v15, v7, v8
	v_mul_lo_u32 v8, v7, v8
	v_add_co_u32 v11, vcc_lo, v11, v12
	v_add_co_ci_u32_e32 v12, vcc_lo, 0, v13, vcc_lo
	v_add_co_u32 v10, vcc_lo, v11, v10
	v_add_co_ci_u32_e32 v10, vcc_lo, v12, v14, vcc_lo
	v_add_co_ci_u32_e32 v11, vcc_lo, 0, v15, vcc_lo
	v_add_co_u32 v8, vcc_lo, v10, v8
	v_add_co_ci_u32_e32 v10, vcc_lo, 0, v11, vcc_lo
	v_add_co_u32 v4, vcc_lo, v4, v8
	v_add_co_ci_u32_e32 v7, vcc_lo, v7, v10, vcc_lo
	v_mul_hi_u32 v8, s0, v4
	v_mul_lo_u32 v11, s22, v4
	v_mul_lo_u32 v10, s0, v7
	v_add_nc_u32_e32 v8, v8, v10
	v_mul_lo_u32 v10, s0, v4
	v_add_nc_u32_e32 v8, v8, v11
	v_mul_hi_u32 v11, v4, v10
	v_mul_lo_u32 v12, v4, v8
	v_mul_hi_u32 v13, v4, v8
	v_mul_hi_u32 v14, v7, v10
	v_mul_lo_u32 v10, v7, v10
	v_mul_hi_u32 v15, v7, v8
	v_mul_lo_u32 v8, v7, v8
	v_add_co_u32 v11, vcc_lo, v11, v12
	v_add_co_ci_u32_e32 v12, vcc_lo, 0, v13, vcc_lo
	v_add_co_u32 v10, vcc_lo, v11, v10
	v_add_co_ci_u32_e32 v10, vcc_lo, v12, v14, vcc_lo
	v_add_co_ci_u32_e32 v11, vcc_lo, 0, v15, vcc_lo
	v_add_co_u32 v8, vcc_lo, v10, v8
	v_add_co_ci_u32_e32 v10, vcc_lo, 0, v11, vcc_lo
	v_add_co_u32 v4, vcc_lo, v4, v8
	v_add_co_ci_u32_e32 v12, vcc_lo, v7, v10, vcc_lo
	v_mul_hi_u32 v14, v5, v4
	v_mad_u64_u32 v[10:11], null, v6, v4, 0
	v_mad_u64_u32 v[7:8], null, v5, v12, 0
	;; [unrolled: 1-line block ×3, first 2 shown]
	v_add_co_u32 v4, vcc_lo, v14, v7
	v_add_co_ci_u32_e32 v7, vcc_lo, 0, v8, vcc_lo
	v_add_co_u32 v4, vcc_lo, v4, v10
	v_add_co_ci_u32_e32 v4, vcc_lo, v7, v11, vcc_lo
	v_add_co_ci_u32_e32 v7, vcc_lo, 0, v13, vcc_lo
	v_add_co_u32 v4, vcc_lo, v4, v12
	v_add_co_ci_u32_e32 v10, vcc_lo, 0, v7, vcc_lo
	v_mul_lo_u32 v11, s21, v4
	v_mad_u64_u32 v[7:8], null, s20, v4, 0
	v_mul_lo_u32 v12, s20, v10
	v_sub_co_u32 v7, vcc_lo, v5, v7
	v_add3_u32 v8, v8, v12, v11
	v_sub_nc_u32_e32 v11, v6, v8
	v_subrev_co_ci_u32_e64 v11, s0, s21, v11, vcc_lo
	v_add_co_u32 v12, s0, v4, 2
	v_add_co_ci_u32_e64 v13, s0, 0, v10, s0
	v_sub_co_u32 v14, s0, v7, s20
	v_sub_co_ci_u32_e32 v8, vcc_lo, v6, v8, vcc_lo
	v_subrev_co_ci_u32_e64 v11, s0, 0, v11, s0
	v_cmp_le_u32_e32 vcc_lo, s20, v14
	v_cmp_eq_u32_e64 s0, s21, v8
	v_cndmask_b32_e64 v14, 0, -1, vcc_lo
	v_cmp_le_u32_e32 vcc_lo, s21, v11
	v_cndmask_b32_e64 v15, 0, -1, vcc_lo
	v_cmp_le_u32_e32 vcc_lo, s20, v7
	;; [unrolled: 2-line block ×3, first 2 shown]
	v_cndmask_b32_e64 v16, 0, -1, vcc_lo
	v_cmp_eq_u32_e32 vcc_lo, s21, v11
	v_cndmask_b32_e64 v7, v16, v7, s0
	v_cndmask_b32_e32 v11, v15, v14, vcc_lo
	v_add_co_u32 v14, vcc_lo, v4, 1
	v_add_co_ci_u32_e32 v15, vcc_lo, 0, v10, vcc_lo
	v_cmp_ne_u32_e32 vcc_lo, 0, v11
	v_cndmask_b32_e32 v8, v15, v13, vcc_lo
	v_cndmask_b32_e32 v11, v14, v12, vcc_lo
	v_cmp_ne_u32_e32 vcc_lo, 0, v7
	v_cndmask_b32_e32 v8, v10, v8, vcc_lo
	v_cndmask_b32_e32 v7, v4, v11, vcc_lo
.LBB0_4:                                ;   in Loop: Header=BB0_2 Depth=1
	s_andn2_saveexec_b32 s0, s1
	s_cbranch_execz .LBB0_6
; %bb.5:                                ;   in Loop: Header=BB0_2 Depth=1
	v_cvt_f32_u32_e32 v4, s20
	s_sub_i32 s1, 0, s20
	v_rcp_iflag_f32_e32 v4, v4
	v_mul_f32_e32 v4, 0x4f7ffffe, v4
	v_cvt_u32_f32_e32 v4, v4
	v_mul_lo_u32 v7, s1, v4
	v_mul_hi_u32 v7, v4, v7
	v_add_nc_u32_e32 v4, v4, v7
	v_mul_hi_u32 v4, v5, v4
	v_mul_lo_u32 v7, v4, s20
	v_add_nc_u32_e32 v8, 1, v4
	v_sub_nc_u32_e32 v7, v5, v7
	v_subrev_nc_u32_e32 v10, s20, v7
	v_cmp_le_u32_e32 vcc_lo, s20, v7
	v_cndmask_b32_e32 v7, v7, v10, vcc_lo
	v_cndmask_b32_e32 v4, v4, v8, vcc_lo
	v_cmp_le_u32_e32 vcc_lo, s20, v7
	v_add_nc_u32_e32 v8, 1, v4
	v_cndmask_b32_e32 v7, v4, v8, vcc_lo
	v_mov_b32_e32 v8, v3
.LBB0_6:                                ;   in Loop: Header=BB0_2 Depth=1
	s_or_b32 exec_lo, exec_lo, s0
	s_load_dwordx2 s[0:1], s[6:7], 0x0
	v_mul_lo_u32 v4, v8, s20
	v_mul_lo_u32 v12, v7, s21
	v_mad_u64_u32 v[10:11], null, v7, s20, 0
	s_add_u32 s18, s18, 1
	s_addc_u32 s19, s19, 0
	s_add_u32 s6, s6, 8
	s_addc_u32 s7, s7, 0
	s_add_u32 s16, s16, 8
	s_addc_u32 s17, s17, 0
	v_add3_u32 v4, v11, v12, v4
	v_sub_co_u32 v5, vcc_lo, v5, v10
	v_sub_co_ci_u32_e32 v4, vcc_lo, v6, v4, vcc_lo
	s_waitcnt lgkmcnt(0)
	v_mul_lo_u32 v6, s1, v5
	v_mul_lo_u32 v4, s0, v4
	v_mad_u64_u32 v[1:2], null, s0, v5, v[1:2]
	v_cmp_ge_u64_e64 s0, s[18:19], s[10:11]
	s_and_b32 vcc_lo, exec_lo, s0
	v_add3_u32 v2, v6, v2, v4
	s_cbranch_vccnz .LBB0_9
; %bb.7:                                ;   in Loop: Header=BB0_2 Depth=1
	v_mov_b32_e32 v5, v7
	v_mov_b32_e32 v6, v8
	s_branch .LBB0_2
.LBB0_8:
	v_mov_b32_e32 v8, v6
	v_mov_b32_e32 v7, v5
.LBB0_9:
	s_lshl_b64 s[0:1], s[10:11], 3
	v_mul_hi_u32 v3, 0x97b425f, v0
	s_add_u32 s0, s14, s0
	s_addc_u32 s1, s15, s1
	s_load_dwordx2 s[4:5], s[4:5], 0x20
	s_load_dwordx2 s[0:1], s[0:1], 0x0
                                        ; implicit-def: $vgpr30
                                        ; implicit-def: $vgpr29
                                        ; implicit-def: $vgpr31
                                        ; implicit-def: $vgpr32
	v_mul_u32_u24_e32 v3, 27, v3
	v_sub_nc_u32_e32 v20, v0, v3
	v_add_nc_u32_e32 v21, 27, v20
	v_add_nc_u32_e32 v18, 54, v20
	;; [unrolled: 1-line block ×4, first 2 shown]
	s_waitcnt lgkmcnt(0)
	v_cmp_gt_u64_e32 vcc_lo, s[4:5], v[7:8]
	v_mul_lo_u32 v3, s0, v8
	v_mul_lo_u32 v4, s1, v7
	v_mad_u64_u32 v[0:1], null, s0, v7, v[1:2]
	v_cmp_le_u64_e64 s0, s[4:5], v[7:8]
	v_add3_u32 v1, v4, v1, v3
	s_and_saveexec_b32 s1, s0
	s_xor_b32 s0, exec_lo, s1
; %bb.10:
	v_add_nc_u32_e32 v30, 27, v20
	v_add_nc_u32_e32 v29, 54, v20
	;; [unrolled: 1-line block ×4, first 2 shown]
; %bb.11:
	s_or_saveexec_b32 s1, s0
	v_lshlrev_b64 v[0:1], 2, v[0:1]
	v_add_nc_u32_e32 v25, 0xa2, v20
	v_add_nc_u32_e32 v22, 0x144, v20
	;; [unrolled: 1-line block ×8, first 2 shown]
                                        ; implicit-def: $vgpr12
                                        ; implicit-def: $vgpr33
                                        ; implicit-def: $vgpr8
                                        ; implicit-def: $vgpr13
                                        ; implicit-def: $vgpr10
                                        ; implicit-def: $vgpr14
                                        ; implicit-def: $vgpr11
                                        ; implicit-def: $vgpr15
                                        ; implicit-def: $vgpr3
                                        ; implicit-def: $vgpr4
                                        ; implicit-def: $vgpr37
                                        ; implicit-def: $vgpr40
                                        ; implicit-def: $vgpr38
                                        ; implicit-def: $vgpr36
                                        ; implicit-def: $vgpr41
                                        ; implicit-def: $vgpr39
                                        ; implicit-def: $vgpr42
                                        ; implicit-def: $vgpr43
                                        ; implicit-def: $vgpr6
                                        ; implicit-def: $vgpr5
                                        ; implicit-def: $vgpr46
                                        ; implicit-def: $vgpr49
                                        ; implicit-def: $vgpr47
                                        ; implicit-def: $vgpr48
                                        ; implicit-def: $vgpr44
                                        ; implicit-def: $vgpr34
                                        ; implicit-def: $vgpr45
                                        ; implicit-def: $vgpr35
                                        ; implicit-def: $vgpr7
                                        ; implicit-def: $vgpr2
	s_xor_b32 exec_lo, exec_lo, s1
	s_cbranch_execz .LBB0_13
; %bb.12:
	v_mad_u64_u32 v[2:3], null, s2, v20, 0
	v_mad_u64_u32 v[4:5], null, s2, v17, 0
	;; [unrolled: 1-line block ×3, first 2 shown]
	v_add_nc_u32_e32 v14, 0xf3, v20
	v_add_co_u32 v43, s0, s12, v0
	v_add_co_ci_u32_e64 v52, s0, s13, v1, s0
	v_mad_u64_u32 v[10:11], null, s3, v20, v[3:4]
	v_mad_u64_u32 v[11:12], null, s3, v17, v[5:6]
	;; [unrolled: 1-line block ×3, first 2 shown]
	v_mov_b32_e32 v5, v7
	v_mad_u64_u32 v[46:47], null, s2, v26, 0
	v_mov_b32_e32 v3, v10
	v_mad_u64_u32 v[7:8], null, s3, v25, v[5:6]
	;; [unrolled: 2-line block ×3, first 2 shown]
	v_lshlrev_b64 v[2:3], 2, v[2:3]
	v_mov_b32_e32 v8, v13
	v_lshlrev_b64 v[4:5], 2, v[4:5]
	v_lshlrev_b64 v[6:7], 2, v[6:7]
	v_mad_u64_u32 v[13:14], null, s3, v14, v[8:9]
	v_add_co_u32 v2, s0, v43, v2
	v_mad_u64_u32 v[14:15], null, s2, v21, 0
	v_mov_b32_e32 v8, v11
	v_add_co_ci_u32_e64 v3, s0, v52, v3, s0
	v_add_co_u32 v4, s0, v43, v4
	v_add_co_ci_u32_e64 v5, s0, v52, v5, s0
	v_add_co_u32 v6, s0, v43, v6
	v_mad_u64_u32 v[29:30], null, s3, v22, v[8:9]
	v_add_co_ci_u32_e64 v7, s0, v52, v7, s0
	v_mov_b32_e32 v8, v15
	v_mad_u64_u32 v[30:31], null, s2, v19, 0
	s_clause 0x2
	global_load_dword v2, v[2:3], off
	global_load_dword v35, v[4:5], off
	;; [unrolled: 1-line block ×3, first 2 shown]
	v_lshlrev_b64 v[3:4], 2, v[12:13]
	v_mad_u64_u32 v[5:6], null, s3, v21, v[8:9]
	v_mad_u64_u32 v[7:8], null, s2, v23, 0
	v_mov_b32_e32 v11, v29
	v_mov_b32_e32 v6, v31
	v_add_co_u32 v32, s0, v43, v3
	v_add_co_ci_u32_e64 v33, s0, v52, v4, s0
	v_lshlrev_b64 v[3:4], 2, v[10:11]
	v_mov_b32_e32 v15, v5
	v_mad_u64_u32 v[5:6], null, s3, v19, v[6:7]
	v_mov_b32_e32 v6, v8
	v_mad_u64_u32 v[10:11], null, s2, v27, 0
	v_add_co_u32 v37, s0, v43, v3
	v_add_co_ci_u32_e64 v38, s0, v52, v4, s0
	v_lshlrev_b64 v[3:4], 2, v[14:15]
	v_mov_b32_e32 v31, v5
	v_mad_u64_u32 v[5:6], null, s3, v23, v[6:7]
	v_mad_u64_u32 v[12:13], null, s2, v16, 0
	v_mov_b32_e32 v6, v11
	v_add_co_u32 v41, s0, v43, v3
	v_add_co_ci_u32_e64 v42, s0, v52, v4, s0
	v_lshlrev_b64 v[3:4], 2, v[30:31]
	v_mov_b32_e32 v8, v5
	v_mad_u64_u32 v[5:6], null, s3, v27, v[6:7]
	v_mov_b32_e32 v6, v13
	v_mad_u64_u32 v[14:15], null, s2, v24, 0
	v_add_co_u32 v29, s0, v43, v3
	v_add_co_ci_u32_e64 v30, s0, v52, v4, s0
	v_lshlrev_b64 v[3:4], 2, v[7:8]
	v_mad_u64_u32 v[6:7], null, s3, v16, v[6:7]
	v_mad_u64_u32 v[7:8], null, s2, v18, 0
	v_mov_b32_e32 v11, v5
	v_add_co_u32 v44, s0, v43, v3
	v_add_co_ci_u32_e64 v45, s0, v52, v4, s0
	v_lshlrev_b64 v[3:4], 2, v[10:11]
	v_mov_b32_e32 v5, v8
	v_mad_u64_u32 v[10:11], null, s2, v28, 0
	v_mov_b32_e32 v13, v6
	v_add_nc_u32_e32 v31, 0x17a, v20
	v_mad_u64_u32 v[5:6], null, s3, v18, v[5:6]
	v_add_co_u32 v3, s0, v43, v3
	v_mov_b32_e32 v6, v11
	v_lshlrev_b64 v[11:12], 2, v[12:13]
	v_mov_b32_e32 v13, v15
	v_add_co_ci_u32_e64 v4, s0, v52, v4, s0
	v_mov_b32_e32 v8, v5
	v_mad_u64_u32 v[5:6], null, s3, v28, v[6:7]
	v_mad_u64_u32 v[39:40], null, s3, v24, v[13:14]
	v_add_co_u32 v48, s0, v43, v11
	v_add_co_ci_u32_e64 v49, s0, v52, v12, s0
	v_lshlrev_b64 v[6:7], 2, v[7:8]
	v_mad_u64_u32 v[12:13], null, s2, v31, 0
	v_mov_b32_e32 v11, v5
	v_mov_b32_e32 v5, v47
	;; [unrolled: 1-line block ×3, first 2 shown]
	v_lshlrev_b64 v[10:11], 2, v[10:11]
	v_mad_u64_u32 v[39:40], null, s3, v26, v[5:6]
	v_add_co_u32 v5, s0, v43, v6
	v_add_co_ci_u32_e64 v6, s0, v52, v7, s0
	v_mov_b32_e32 v7, v13
	v_lshlrev_b64 v[13:14], 2, v[14:15]
	v_mov_b32_e32 v47, v39
	v_add_co_u32 v10, s0, v43, v10
	v_mad_u64_u32 v[7:8], null, s3, v31, v[7:8]
	v_add_co_ci_u32_e64 v11, s0, v52, v11, s0
	v_lshlrev_b64 v[39:40], 2, v[46:47]
	v_add_co_u32 v46, s0, v43, v13
	v_add_co_ci_u32_e64 v47, s0, v52, v14, s0
	v_mov_b32_e32 v13, v7
	v_add_co_u32 v7, s0, v43, v39
	v_add_co_ci_u32_e64 v8, s0, v52, v40, s0
	v_lshlrev_b64 v[50:51], 2, v[12:13]
	s_clause 0x5
	global_load_dword v36, v[3:4], off
	global_load_dword v40, v[48:49], off
	;; [unrolled: 1-line block ×6, first 2 shown]
	v_mov_b32_e32 v31, v17
	v_add_co_u32 v6, s0, v43, v50
	v_add_co_ci_u32_e64 v7, s0, v52, v51, s0
	s_clause 0x5
	global_load_dword v48, v[32:33], off
	global_load_dword v49, v[37:38], off
	;; [unrolled: 1-line block ×6, first 2 shown]
	v_mov_b32_e32 v32, v19
	v_mov_b32_e32 v29, v18
	;; [unrolled: 1-line block ×3, first 2 shown]
	s_waitcnt vmcnt(14)
	v_lshrrev_b32_e32 v7, 16, v2
	s_waitcnt vmcnt(13)
	v_lshrrev_b32_e32 v45, 16, v35
	;; [unrolled: 2-line block ×15, first 2 shown]
.LBB0_13:
	s_or_b32 exec_lo, exec_lo, s1
	v_add_f16_e32 v51, v48, v34
	v_sub_f16_e32 v52, v45, v46
	v_sub_f16_e32 v54, v35, v34
	;; [unrolled: 1-line block ×3, first 2 shown]
	v_add_f16_e32 v57, v49, v35
	v_fma_f16 v51, -0.5, v51, v2
	v_add_f16_e32 v50, v35, v2
	v_sub_f16_e32 v53, v44, v47
	v_add_f16_e32 v54, v55, v54
	v_fmac_f16_e32 v2, -0.5, v57
	v_fmamk_f16 v56, v52, 0xbb9c, v51
	v_fmac_f16_e32 v51, 0x3b9c, v52
	v_sub_f16_e32 v55, v34, v35
	v_sub_f16_e32 v57, v48, v49
	v_add_f16_e32 v50, v34, v50
	v_fmac_f16_e32 v56, 0xb8b4, v53
	v_fmac_f16_e32 v51, 0x38b4, v53
	v_add_f16_e32 v58, v47, v44
	v_add_f16_e32 v55, v57, v55
	;; [unrolled: 1-line block ×4, first 2 shown]
	v_fmac_f16_e32 v56, 0x34f2, v54
	v_fmac_f16_e32 v51, 0x34f2, v54
	v_fmamk_f16 v54, v53, 0x3b9c, v2
	v_fma_f16 v58, -0.5, v58, v7
	v_sub_f16_e32 v35, v35, v49
	v_fmac_f16_e32 v2, 0xbb9c, v53
	v_add_f16_e32 v53, v44, v57
	v_add_f16_e32 v59, v46, v45
	;; [unrolled: 1-line block ×3, first 2 shown]
	v_mul_f16_e32 v49, 0x34f2, v55
	v_fmamk_f16 v55, v35, 0x3b9c, v58
	v_sub_f16_e32 v34, v34, v48
	v_sub_f16_e32 v48, v45, v44
	;; [unrolled: 1-line block ×3, first 2 shown]
	v_fmac_f16_e32 v58, 0xbb9c, v35
	v_add_f16_e32 v53, v47, v53
	v_fmac_f16_e32 v7, -0.5, v59
	v_fmac_f16_e32 v54, 0xb8b4, v52
	v_fmac_f16_e32 v55, 0x38b4, v34
	v_add_f16_e32 v48, v57, v48
	v_fmac_f16_e32 v58, 0xb8b4, v34
	v_fmac_f16_e32 v2, 0x38b4, v52
	v_add_f16_e32 v52, v46, v53
	v_fmamk_f16 v53, v34, 0xbb9c, v7
	v_sub_f16_e32 v44, v44, v45
	v_sub_f16_e32 v45, v47, v46
	v_fmac_f16_e32 v7, 0x3b9c, v34
	v_sub_f16_e32 v57, v43, v39
	v_sub_f16_e32 v59, v40, v36
	v_fmac_f16_e32 v55, 0x34f2, v48
	v_fmac_f16_e32 v58, 0x34f2, v48
	v_add_f16_e32 v48, v36, v39
	v_add_f16_e32 v46, v43, v5
	v_fmac_f16_e32 v53, 0x38b4, v35
	v_add_f16_e32 v44, v45, v44
	v_fmac_f16_e32 v7, 0xb8b4, v35
	v_add_f16_e32 v35, v59, v57
	v_add_f16_e32 v57, v40, v43
	v_fma_f16 v47, -0.5, v48, v5
	v_sub_f16_e32 v48, v42, v37
	v_add_f16_e32 v34, v39, v46
	v_fmac_f16_e32 v53, 0x34f2, v44
	v_fmac_f16_e32 v7, 0x34f2, v44
	v_fmac_f16_e32 v5, -0.5, v57
	v_sub_f16_e32 v44, v39, v43
	v_sub_f16_e32 v57, v36, v40
	v_add_f16_e32 v59, v42, v6
	v_fmamk_f16 v45, v48, 0xbb9c, v47
	v_sub_f16_e32 v46, v41, v38
	v_add_f16_e32 v34, v36, v34
	v_fmac_f16_e32 v47, 0x3b9c, v48
	v_add_f16_e32 v44, v57, v44
	v_add_f16_e32 v57, v41, v59
	v_fmac_f16_e32 v45, 0xb8b4, v46
	v_add_f16_e32 v34, v40, v34
	v_fmac_f16_e32 v47, 0x38b4, v46
	v_add_f16_e32 v60, v38, v41
	v_sub_f16_e32 v40, v43, v40
	v_mul_f16_e32 v43, 0x34f2, v44
	v_add_f16_e32 v44, v38, v57
	v_add_f16_e32 v57, v37, v42
	v_fmac_f16_e32 v45, 0x34f2, v35
	v_fmac_f16_e32 v47, 0x34f2, v35
	v_fmamk_f16 v35, v46, 0x3b9c, v5
	v_fma_f16 v59, -0.5, v60, v6
	v_fmac_f16_e32 v5, 0xbb9c, v46
	v_sub_f16_e32 v36, v39, v36
	v_fmac_f16_e32 v6, -0.5, v57
	v_fmac_f16_e32 v35, 0xb8b4, v48
	v_fmamk_f16 v46, v40, 0x3b9c, v59
	v_sub_f16_e32 v39, v42, v41
	v_sub_f16_e32 v60, v37, v38
	v_fmac_f16_e32 v5, 0x38b4, v48
	v_add_f16_e32 v48, v37, v44
	v_fmac_f16_e32 v59, 0xbb9c, v40
	v_fmamk_f16 v57, v36, 0xbb9c, v6
	v_sub_f16_e32 v41, v41, v42
	v_sub_f16_e32 v37, v38, v37
	v_add_f16_e32 v38, v13, v14
	v_fmac_f16_e32 v6, 0x3b9c, v36
	v_fmac_f16_e32 v46, 0x38b4, v36
	v_add_f16_e32 v39, v60, v39
	v_fmac_f16_e32 v59, 0xb8b4, v36
	v_fmac_f16_e32 v57, 0x38b4, v40
	v_add_f16_e32 v37, v37, v41
	v_add_f16_e32 v41, v15, v4
	v_fma_f16 v38, -0.5, v38, v4
	v_sub_f16_e32 v42, v11, v12
	v_fmac_f16_e32 v6, 0xb8b4, v40
	v_add_f16_e32 v40, v33, v15
	v_fmac_f16_e32 v46, 0x34f2, v39
	v_fmac_f16_e32 v59, 0x34f2, v39
	v_add_f16_e32 v36, v14, v41
	v_fmamk_f16 v41, v42, 0xbb9c, v38
	v_sub_f16_e32 v39, v10, v8
	v_sub_f16_e32 v44, v15, v14
	v_sub_f16_e32 v60, v33, v13
	v_fmac_f16_e32 v38, 0x3b9c, v42
	v_fmac_f16_e32 v4, -0.5, v40
	v_and_b32_e32 v9, 3, v9
	v_fmac_f16_e32 v57, 0x34f2, v37
	v_fmac_f16_e32 v41, 0xb8b4, v39
	v_add_f16_e32 v44, v60, v44
	v_fmac_f16_e32 v6, 0x34f2, v37
	v_fmac_f16_e32 v38, 0x38b4, v39
	v_add_f16_e32 v37, v8, v10
	v_fmamk_f16 v60, v39, 0x3b9c, v4
	v_add_f16_e32 v62, v11, v3
	v_fmac_f16_e32 v4, 0xbb9c, v39
	v_add_f16_e32 v39, v12, v11
	v_mul_u32_u24_e32 v9, 0x195, v9
	v_add_f16_e32 v36, v13, v36
	v_sub_f16_e32 v40, v14, v15
	v_sub_f16_e32 v61, v13, v33
	v_fma_f16 v63, -0.5, v37, v3
	v_add_f16_e32 v37, v10, v62
	v_sub_f16_e32 v13, v14, v13
	v_fmac_f16_e32 v3, -0.5, v39
	v_add_f16_e32 v36, v33, v36
	v_sub_f16_e32 v15, v15, v33
	v_add_f16_e32 v33, v61, v40
	v_sub_f16_e32 v14, v11, v10
	v_sub_f16_e32 v40, v12, v8
	v_add_f16_e32 v37, v8, v37
	v_fmamk_f16 v64, v13, 0xbb9c, v3
	v_sub_f16_e32 v10, v10, v11
	v_sub_f16_e32 v8, v8, v12
	v_fmac_f16_e32 v3, 0x3b9c, v13
	v_lshlrev_b32_e32 v39, 1, v9
	v_fmac_f16_e32 v60, 0xb8b4, v42
	v_fmac_f16_e32 v4, 0x38b4, v42
	v_pack_b32_f16 v2, v54, v2
	v_add_f16_e32 v14, v40, v14
	v_fmac_f16_e32 v64, 0x38b4, v15
	v_add_f16_e32 v8, v8, v10
	v_fmac_f16_e32 v3, 0xb8b4, v15
	v_add_nc_u32_e32 v40, 0, v39
	v_pack_b32_f16 v5, v35, v5
	v_fmac_f16_e32 v41, 0x34f2, v44
	v_mul_f16_e32 v33, 0x34f2, v33
	v_pk_add_f16 v9, v49, v2 op_sel_hi:[0,1]
	v_pack_b32_f16 v2, v60, v4
	v_fmac_f16_e32 v64, 0x34f2, v8
	v_fmac_f16_e32 v3, 0x34f2, v8
	v_mad_u32_u24 v54, v20, 10, v40
	v_pack_b32_f16 v8, v50, v56
	v_mad_i32_i24 v49, v30, 10, v40
	v_pk_add_f16 v5, v43, v5 op_sel_hi:[0,1]
	v_pack_b32_f16 v4, v34, v45
	v_mad_i32_i24 v50, v29, 10, v40
	v_pk_add_f16 v11, v33, v2 op_sel_hi:[0,1]
	v_pack_b32_f16 v10, v36, v41
	ds_write_b64 v54, v[8:9]
	ds_write_b16 v54, v51 offset:8
	ds_write_b64 v49, v[4:5]
	ds_write_b16 v49, v47 offset:8
	ds_write_b64 v50, v[10:11]
	v_and_b32_e32 v9, 0xff, v20
	v_fmamk_f16 v61, v15, 0x3b9c, v63
	v_fmac_f16_e32 v63, 0xbb9c, v15
	v_lshlrev_b32_e32 v2, 1, v20
	v_lshlrev_b32_e32 v5, 3, v29
	v_mul_lo_u16 v43, 0xcd, v9
	v_pack_b32_f16 v41, v52, v55
	v_fmac_f16_e32 v38, 0x34f2, v44
	v_lshlrev_b32_e32 v4, 3, v30
	v_fmac_f16_e32 v61, 0x38b4, v13
	v_lshrrev_b16 v55, 10, v43
	v_add_f16_e32 v62, v12, v37
	v_fmac_f16_e32 v63, 0xb8b4, v13
	v_add3_u32 v33, 0, v2, v39
	v_add_nc_u32_e32 v34, v40, v2
	v_sub_nc_u32_e32 v36, v50, v5
	v_lshl_add_u32 v37, v31, 1, v40
	v_pack_b32_f16 v42, v53, v7
	v_mul_lo_u16 v7, v55, 5
	ds_write_b16 v50, v38 offset:8
	v_sub_nc_u32_e32 v35, v49, v4
	v_lshl_add_u32 v38, v32, 1, v40
	v_pack_b32_f16 v43, v57, v6
	v_and_b32_e32 v6, 0xff, v30
	v_fmac_f16_e32 v61, 0x34f2, v14
	v_fmac_f16_e32 v63, 0x34f2, v14
	s_waitcnt lgkmcnt(0)
	s_barrier
	buffer_gl0_inv
	ds_read_u16 v4, v34
	ds_read_u16 v44, v33 offset:270
	ds_read_u16 v15, v33 offset:324
	;; [unrolled: 1-line block ×6, first 2 shown]
	ds_read_u16 v8, v37
	ds_read_u16 v5, v38
	ds_read_u16 v56, v33 offset:594
	ds_read_u16 v60, v33 offset:540
	ds_read_u16 v65, v33 offset:486
	ds_read_u16 v9, v36
	ds_read_u16 v10, v35
	ds_read_u16 v66, v33 offset:756
	s_waitcnt lgkmcnt(0)
	s_barrier
	buffer_gl0_inv
	ds_write_b64 v54, v[41:42]
	v_pack_b32_f16 v42, v48, v46
	v_sub_nc_u16 v57, v20, v7
	v_and_b32_e32 v7, 0xff, v29
	v_pack_b32_f16 v46, v64, v3
	v_mul_lo_u16 v3, 0xcd, v6
	ds_write_b16 v54, v58 offset:8
	ds_write_b64 v49, v[42:43]
	v_mul_lo_u16 v43, 0xcd, v7
	v_pack_b32_f16 v45, v62, v61
	v_lshrrev_b16 v42, 10, v3
	v_and_b32_e32 v3, 0xff, v31
	ds_write_b16 v49, v59 offset:8
	ds_write_b64 v50, v[45:46]
	v_lshrrev_b16 v58, 10, v43
	v_and_b32_e32 v43, 0xff, v32
	v_mul_lo_u16 v47, 0xcd, v3
	v_mul_lo_u16 v46, v42, 5
	v_mov_b32_e32 v41, 3
	ds_write_b16 v50, v63 offset:8
	v_mul_lo_u16 v48, 0xcd, v43
	v_lshrrev_b16 v61, 10, v47
	v_sub_nc_u16 v59, v30, v46
	v_mul_lo_u16 v46, v58, 5
	v_lshlrev_b32_sdwa v45, v41, v57 dst_sel:DWORD dst_unused:UNUSED_PAD src0_sel:DWORD src1_sel:BYTE_0
	v_lshrrev_b16 v63, 10, v48
	v_mul_lo_u16 v49, v61, 5
	v_lshlrev_b32_sdwa v47, v41, v59 dst_sel:DWORD dst_unused:UNUSED_PAD src0_sel:DWORD src1_sel:BYTE_0
	v_sub_nc_u16 v62, v29, v46
	s_waitcnt lgkmcnt(0)
	v_mul_lo_u16 v51, v63, 5
	v_sub_nc_u16 v64, v31, v49
	s_barrier
	buffer_gl0_inv
	s_clause 0x1
	global_load_dwordx2 v[45:46], v45, s[8:9]
	global_load_dwordx2 v[47:48], v47, s[8:9]
	v_sub_nc_u16 v67, v32, v51
	v_lshlrev_b32_sdwa v50, v41, v62 dst_sel:DWORD dst_unused:UNUSED_PAD src0_sel:DWORD src1_sel:BYTE_0
	v_lshlrev_b32_sdwa v52, v41, v64 dst_sel:DWORD dst_unused:UNUSED_PAD src0_sel:DWORD src1_sel:BYTE_0
	ds_read_u16 v69, v33 offset:270
	ds_read_u16 v70, v33 offset:540
	v_lshlrev_b32_sdwa v53, v41, v67 dst_sel:DWORD dst_unused:UNUSED_PAD src0_sel:DWORD src1_sel:BYTE_0
	s_clause 0x1
	global_load_dwordx2 v[49:50], v50, s[8:9]
	global_load_dwordx2 v[51:52], v52, s[8:9]
	v_and_b32_e32 v55, 0xffff, v55
	v_and_b32_e32 v68, 0xffff, v42
	global_load_dwordx2 v[53:54], v53, s[8:9]
	ds_read_u16 v71, v33 offset:324
	ds_read_u16 v72, v33 offset:594
	;; [unrolled: 1-line block ×8, first 2 shown]
	v_mov_b32_e32 v42, 1
	v_mad_u32_u24 v55, v55, 30, 0
	v_mad_u32_u24 v68, v68, 30, 0
	v_cmp_gt_u32_e64 s0, 15, v20
	v_mul_lo_u16 v6, 0x89, v6
	v_lshlrev_b32_sdwa v57, v42, v57 dst_sel:DWORD dst_unused:UNUSED_PAD src0_sel:DWORD src1_sel:BYTE_0
	v_lshlrev_b32_sdwa v59, v42, v59 dst_sel:DWORD dst_unused:UNUSED_PAD src0_sel:DWORD src1_sel:BYTE_0
	v_add3_u32 v79, v55, v57, v39
	v_add3_u32 v59, v68, v59, v39
	ds_read_u16 v68, v34
	ds_read_u16 v80, v37
	;; [unrolled: 1-line block ×5, first 2 shown]
	s_waitcnt vmcnt(0) lgkmcnt(0)
	s_barrier
	buffer_gl0_inv
	v_mul_f16_sdwa v55, v69, v45 dst_sel:DWORD dst_unused:UNUSED_PAD src0_sel:DWORD src1_sel:WORD_1
	v_mul_f16_sdwa v84, v70, v46 dst_sel:DWORD dst_unused:UNUSED_PAD src0_sel:DWORD src1_sel:WORD_1
	;; [unrolled: 1-line block ×6, first 2 shown]
	v_fmac_f16_e32 v55, v44, v45
	v_mul_f16_sdwa v44, v56, v48 dst_sel:DWORD dst_unused:UNUSED_PAD src0_sel:DWORD src1_sel:WORD_1
	v_mul_f16_sdwa v88, v72, v48 dst_sel:DWORD dst_unused:UNUSED_PAD src0_sel:DWORD src1_sel:WORD_1
	v_fmac_f16_e32 v84, v60, v46
	v_fmac_f16_e32 v86, v15, v47
	v_fma_f16 v71, v71, v47, -v87
	v_mul_f16_sdwa v87, v77, v52 dst_sel:DWORD dst_unused:UNUSED_PAD src0_sel:DWORD src1_sel:WORD_1
	v_mul_f16_sdwa v47, v12, v52 dst_sel:DWORD dst_unused:UNUSED_PAD src0_sel:DWORD src1_sel:WORD_1
	v_fma_f16 v46, v70, v46, -v85
	v_mul_f16_sdwa v85, v74, v51 dst_sel:DWORD dst_unused:UNUSED_PAD src0_sel:DWORD src1_sel:WORD_1
	v_mul_f16_sdwa v15, v11, v51 dst_sel:DWORD dst_unused:UNUSED_PAD src0_sel:DWORD src1_sel:WORD_1
	v_fma_f16 v72, v72, v48, -v44
	v_mul_f16_sdwa v44, v65, v53 dst_sel:DWORD dst_unused:UNUSED_PAD src0_sel:DWORD src1_sel:WORD_1
	v_fmac_f16_e32 v88, v56, v48
	v_fma_f16 v45, v69, v45, -v57
	v_mul_f16_sdwa v69, v73, v49 dst_sel:DWORD dst_unused:UNUSED_PAD src0_sel:DWORD src1_sel:WORD_1
	v_mul_f16_sdwa v57, v13, v49 dst_sel:DWORD dst_unused:UNUSED_PAD src0_sel:DWORD src1_sel:WORD_1
	;; [unrolled: 1-line block ×4, first 2 shown]
	v_fmac_f16_e32 v87, v12, v52
	v_fma_f16 v12, v77, v52, -v47
	v_add_f16_e32 v47, v55, v84
	v_fmac_f16_e32 v85, v11, v51
	v_fma_f16 v11, v74, v51, -v15
	v_fma_f16 v15, v75, v53, -v44
	v_add_f16_e32 v44, v4, v55
	v_mul_f16_sdwa v90, v78, v54 dst_sel:DWORD dst_unused:UNUSED_PAD src0_sel:DWORD src1_sel:WORD_1
	v_add_f16_e32 v51, v86, v88
	v_fmac_f16_e32 v69, v13, v49
	v_fma_f16 v73, v73, v49, -v57
	v_fmac_f16_e32 v60, v14, v50
	v_fma_f16 v14, v76, v50, -v70
	v_add_f16_e32 v49, v68, v45
	v_add_f16_e32 v50, v45, v46
	v_sub_f16_e32 v45, v45, v46
	v_fmac_f16_e32 v4, -0.5, v47
	v_add_f16_e32 v52, v10, v86
	v_add_f16_e32 v44, v44, v84
	v_mul_f16_sdwa v89, v75, v53 dst_sel:DWORD dst_unused:UNUSED_PAD src0_sel:DWORD src1_sel:WORD_1
	v_mul_f16_sdwa v13, v66, v54 dst_sel:DWORD dst_unused:UNUSED_PAD src0_sel:DWORD src1_sel:WORD_1
	v_fmac_f16_e32 v90, v66, v54
	v_sub_f16_e32 v66, v71, v72
	v_fmac_f16_e32 v10, -0.5, v51
	v_add_f16_e32 v76, v49, v46
	v_fmamk_f16 v46, v45, 0xbaee, v4
	v_fmac_f16_e32 v4, 0x3aee, v45
	ds_write_b16 v79, v44
	v_add_f16_e32 v44, v52, v88
	v_fmac_f16_e32 v89, v65, v53
	v_fmamk_f16 v45, v66, 0xbaee, v10
	v_add_f16_e32 v53, v69, v60
	v_fmac_f16_e32 v68, -0.5, v50
	v_and_b32_e32 v50, 0xffff, v58
	ds_write_b16 v79, v46 offset:10
	ds_write_b16 v79, v4 offset:20
	ds_write_b16 v59, v44
	v_and_b32_e32 v4, 0xffff, v61
	v_sub_f16_e32 v48, v55, v84
	v_add_f16_e32 v55, v85, v87
	v_fma_f16 v13, v78, v54, -v13
	v_add_f16_e32 v57, v89, v90
	v_fmac_f16_e32 v10, 0x3aee, v66
	ds_write_b16 v59, v45 offset:10
	v_and_b32_e32 v45, 0xffff, v63
	v_add_f16_e32 v54, v9, v69
	v_sub_f16_e32 v70, v73, v14
	v_fmac_f16_e32 v9, -0.5, v53
	v_lshlrev_b32_sdwa v51, v42, v62 dst_sel:DWORD dst_unused:UNUSED_PAD src0_sel:DWORD src1_sel:BYTE_0
	v_mad_u32_u24 v50, v50, 30, 0
	v_add_f16_e32 v56, v8, v85
	v_lshlrev_b32_sdwa v44, v42, v64 dst_sel:DWORD dst_unused:UNUSED_PAD src0_sel:DWORD src1_sel:BYTE_0
	v_mad_u32_u24 v4, v4, 30, 0
	v_sub_f16_e32 v74, v11, v12
	v_fmac_f16_e32 v8, -0.5, v55
	v_add_f16_e32 v65, v5, v89
	v_sub_f16_e32 v75, v15, v13
	v_fmac_f16_e32 v5, -0.5, v57
	ds_write_b16 v59, v10 offset:20
	v_lshlrev_b32_sdwa v10, v42, v67 dst_sel:DWORD dst_unused:UNUSED_PAD src0_sel:DWORD src1_sel:BYTE_0
	v_mad_u32_u24 v45, v45, 30, 0
	v_fmamk_f16 v47, v70, 0xbaee, v9
	v_fmac_f16_e32 v9, 0x3aee, v70
	v_add3_u32 v61, v50, v51, v39
	v_add_f16_e32 v46, v54, v60
	v_add3_u32 v62, v4, v44, v39
	v_add_f16_e32 v4, v56, v87
	v_fmamk_f16 v77, v48, 0x3aee, v68
	v_fmac_f16_e32 v68, 0xbaee, v48
	v_fmamk_f16 v48, v74, 0xbaee, v8
	v_fmac_f16_e32 v8, 0x3aee, v74
	;; [unrolled: 2-line block ×3, first 2 shown]
	v_add3_u32 v10, v45, v10, v39
	v_add_f16_e32 v44, v65, v90
	ds_write_b16 v61, v46
	ds_write_b16 v61, v47 offset:10
	ds_write_b16 v61, v9 offset:20
	ds_write_b16 v62, v4
	ds_write_b16 v62, v48 offset:10
	ds_write_b16 v62, v8 offset:20
	;; [unrolled: 3-line block ×3, first 2 shown]
	v_add_f16_e32 v5, v71, v72
	v_add_f16_e32 v63, v73, v14
	;; [unrolled: 1-line block ×4, first 2 shown]
	v_sub_f16_e32 v60, v69, v60
	v_fmac_f16_e32 v83, -0.5, v5
	v_add_f16_e32 v5, v11, v12
	v_fmac_f16_e32 v82, -0.5, v63
	v_sub_f16_e32 v8, v86, v88
	v_add_f16_e32 v9, v9, v14
	v_add_f16_e32 v11, v80, v11
	v_fmac_f16_e32 v80, -0.5, v5
	v_fmamk_f16 v14, v60, 0x3aee, v82
	v_fmac_f16_e32 v82, 0xbaee, v60
	v_sub_f16_e32 v60, v85, v87
	v_add_nc_u32_e32 v63, -15, v20
	v_add_f16_e32 v4, v4, v72
	v_fmamk_f16 v5, v8, 0x3aee, v83
	v_fmac_f16_e32 v83, 0xbaee, v8
	v_add_f16_e32 v8, v15, v13
	v_add_f16_e32 v11, v11, v12
	v_fmamk_f16 v12, v60, 0x3aee, v80
	v_fmac_f16_e32 v80, 0xbaee, v60
	v_cndmask_b32_e64 v60, v63, v20, s0
	s_waitcnt lgkmcnt(0)
	s_barrier
	buffer_gl0_inv
	ds_read_u16 v44, v34
	ds_read_u16 v57, v33 offset:270
	ds_read_u16 v55, v33 offset:324
	;; [unrolled: 1-line block ×6, first 2 shown]
	ds_read_u16 v46, v37
	ds_read_u16 v45, v38
	ds_read_u16 v56, v33 offset:594
	ds_read_u16 v58, v33 offset:540
	;; [unrolled: 1-line block ×3, first 2 shown]
	ds_read_u16 v47, v36
	ds_read_u16 v48, v35
	ds_read_u16 v54, v33 offset:756
	s_waitcnt lgkmcnt(0)
	s_barrier
	buffer_gl0_inv
	ds_write_b16 v79, v76
	ds_write_b16 v79, v77 offset:10
	ds_write_b16 v79, v68 offset:20
	v_add_f16_e32 v15, v81, v15
	v_fmac_f16_e32 v81, -0.5, v8
	v_sub_f16_e32 v8, v89, v90
	ds_write_b16 v59, v4
	ds_write_b16 v59, v5 offset:10
	ds_write_b16 v59, v83 offset:20
	v_lshlrev_b32_e32 v4, 1, v60
	v_mov_b32_e32 v5, 0
	v_add_f16_e32 v13, v15, v13
	v_fmamk_f16 v15, v8, 0x3aee, v81
	v_fmac_f16_e32 v81, 0xbaee, v8
	ds_write_b16 v61, v9
	ds_write_b16 v61, v14 offset:10
	ds_write_b16 v61, v82 offset:20
	ds_write_b16 v62, v11
	v_lshlrev_b64 v[8:9], 2, v[4:5]
	v_lshrrev_b16 v60, 11, v6
	v_mul_lo_u16 v11, 0x89, v7
	ds_write_b16 v62, v12 offset:10
	ds_write_b16 v62, v80 offset:20
	ds_write_b16 v10, v13
	ds_write_b16 v10, v15 offset:10
	ds_write_b16 v10, v81 offset:20
	s_waitcnt lgkmcnt(0)
	v_add_co_u32 v6, s0, s8, v8
	v_add_co_ci_u32_e64 v7, s0, s9, v9, s0
	v_mul_lo_u16 v9, 0x89, v3
	v_mul_lo_u16 v8, v60, 15
	v_lshrrev_b16 v61, 11, v11
	s_barrier
	buffer_gl0_inv
	v_lshrrev_b16 v62, 11, v9
	v_mul_lo_u16 v9, 0x89, v43
	v_sub_nc_u16 v59, v30, v8
	v_mul_lo_u16 v8, v61, 15
	global_load_dwordx2 v[14:15], v[6:7], off offset:40
	v_mul_lo_u16 v6, v62, 15
	v_lshrrev_b16 v68, 11, v9
	v_lshlrev_b32_sdwa v10, v41, v59 dst_sel:DWORD dst_unused:UNUSED_PAD src0_sel:DWORD src1_sel:BYTE_0
	v_sub_nc_u16 v63, v29, v8
	v_cmp_lt_u32_e64 s0, 14, v20
	v_sub_nc_u16 v64, v31, v6
	v_mul_lo_u16 v6, v68, 15
	global_load_dwordx2 v[12:13], v10, s[8:9] offset:40
	v_lshlrev_b32_sdwa v7, v41, v63 dst_sel:DWORD dst_unused:UNUSED_PAD src0_sel:DWORD src1_sel:BYTE_0
	v_cndmask_b32_e64 v66, 0, 0x5a, s0
	v_subrev_nc_u32_e32 v67, 18, v20
	v_sub_nc_u16 v65, v32, v6
	v_mul_lo_u16 v43, 0x6d, v43
	global_load_dwordx2 v[10:11], v7, s[8:9] offset:40
	v_lshlrev_b32_sdwa v7, v41, v64 dst_sel:DWORD dst_unused:UNUSED_PAD src0_sel:DWORD src1_sel:BYTE_0
	v_add_nc_u32_e32 v69, 0, v66
	v_lshlrev_b32_sdwa v6, v41, v65 dst_sel:DWORD dst_unused:UNUSED_PAD src0_sel:DWORD src1_sel:BYTE_0
	v_mul_lo_u16 v66, 0x6d, v3
	v_mov_b32_e32 v3, v5
	global_load_dwordx2 v[8:9], v7, s[8:9] offset:40
	v_cmp_gt_u32_e64 s0, 18, v20
	global_load_dwordx2 v[6:7], v6, s[8:9] offset:40
	v_lshrrev_b16 v71, 8, v66
	v_lshlrev_b32_sdwa v59, v42, v59 dst_sel:DWORD dst_unused:UNUSED_PAD src0_sel:DWORD src1_sel:BYTE_0
	v_lshlrev_b32_sdwa v63, v42, v63 dst_sel:DWORD dst_unused:UNUSED_PAD src0_sel:DWORD src1_sel:BYTE_0
	v_cndmask_b32_e64 v70, v67, v30, s0
	v_lshlrev_b64 v[66:67], 2, v[2:3]
	v_lshrrev_b16 v3, 8, v43
	v_and_b32_e32 v43, 0xffff, v60
	v_and_b32_e32 v60, 0xffff, v61
	;; [unrolled: 1-line block ×4, first 2 shown]
	v_lshlrev_b32_sdwa v64, v42, v64 dst_sel:DWORD dst_unused:UNUSED_PAD src0_sel:DWORD src1_sel:BYTE_0
	v_mad_u32_u24 v43, 0x5a, v43, 0
	v_mad_u32_u24 v60, 0x5a, v60, 0
	;; [unrolled: 1-line block ×4, first 2 shown]
	v_lshlrev_b32_sdwa v65, v42, v65 dst_sel:DWORD dst_unused:UNUSED_PAD src0_sel:DWORD src1_sel:BYTE_0
	v_add3_u32 v43, v43, v59, v39
	v_add3_u32 v59, v60, v63, v39
	ds_read_u16 v60, v33 offset:270
	ds_read_u16 v63, v33 offset:540
	v_add3_u32 v61, v61, v64, v39
	v_add3_u32 v62, v62, v65, v39
	ds_read_u16 v64, v33 offset:324
	ds_read_u16 v65, v33 offset:594
	;; [unrolled: 1-line block ×8, first 2 shown]
	ds_read_u16 v78, v34
	ds_read_u16 v79, v37
	;; [unrolled: 1-line block ×5, first 2 shown]
	v_add3_u32 v4, v69, v4, v39
	v_sub_nc_u16 v69, v32, v3
	v_sub_nc_u16 v68, v31, v71
	s_waitcnt vmcnt(0) lgkmcnt(0)
	s_barrier
	buffer_gl0_inv
	v_lshrrev_b16 v69, 1, v69
	v_lshrrev_b16 v68, 1, v68
	v_add_nc_u32_e32 v2, 18, v2
	v_and_b32_e32 v68, 0x7f, v68
	v_mul_f16_sdwa v83, v60, v14 dst_sel:DWORD dst_unused:UNUSED_PAD src0_sel:DWORD src1_sel:WORD_1
	v_mul_f16_sdwa v84, v57, v14 dst_sel:DWORD dst_unused:UNUSED_PAD src0_sel:DWORD src1_sel:WORD_1
	;; [unrolled: 1-line block ×4, first 2 shown]
	v_fmac_f16_e32 v83, v57, v14
	v_fma_f16 v14, v60, v14, -v84
	v_fmac_f16_e32 v85, v58, v15
	v_mul_f16_sdwa v87, v64, v12 dst_sel:DWORD dst_unused:UNUSED_PAD src0_sel:DWORD src1_sel:WORD_1
	v_mul_f16_sdwa v57, v55, v12 dst_sel:DWORD dst_unused:UNUSED_PAD src0_sel:DWORD src1_sel:WORD_1
	;; [unrolled: 1-line block ×4, first 2 shown]
	v_fma_f16 v15, v63, v15, -v86
	v_fmac_f16_e32 v87, v55, v12
	v_mul_f16_sdwa v63, v72, v10 dst_sel:DWORD dst_unused:UNUSED_PAD src0_sel:DWORD src1_sel:WORD_1
	v_mul_f16_sdwa v84, v51, v10 dst_sel:DWORD dst_unused:UNUSED_PAD src0_sel:DWORD src1_sel:WORD_1
	;; [unrolled: 1-line block ×3, first 2 shown]
	v_fma_f16 v12, v64, v12, -v57
	v_fmac_f16_e32 v60, v56, v13
	v_fma_f16 v13, v65, v13, -v58
	v_mul_f16_sdwa v57, v73, v8 dst_sel:DWORD dst_unused:UNUSED_PAD src0_sel:DWORD src1_sel:WORD_1
	v_mul_f16_sdwa v58, v76, v9 dst_sel:DWORD dst_unused:UNUSED_PAD src0_sel:DWORD src1_sel:WORD_1
	;; [unrolled: 1-line block ×3, first 2 shown]
	v_fmac_f16_e32 v63, v51, v10
	v_fma_f16 v10, v72, v10, -v84
	v_mul_f16_sdwa v72, v77, v7 dst_sel:DWORD dst_unused:UNUSED_PAD src0_sel:DWORD src1_sel:WORD_1
	v_mul_f16_sdwa v55, v52, v11 dst_sel:DWORD dst_unused:UNUSED_PAD src0_sel:DWORD src1_sel:WORD_1
	;; [unrolled: 1-line block ×5, first 2 shown]
	v_fmac_f16_e32 v86, v52, v11
	v_mul_f16_sdwa v52, v54, v7 dst_sel:DWORD dst_unused:UNUSED_PAD src0_sel:DWORD src1_sel:WORD_1
	v_fmac_f16_e32 v57, v49, v8
	v_fmac_f16_e32 v58, v50, v9
	;; [unrolled: 1-line block ×4, first 2 shown]
	v_add_f16_e32 v50, v83, v85
	v_fma_f16 v11, v75, v11, -v55
	v_fma_f16 v8, v73, v8, -v56
	;; [unrolled: 1-line block ×5, first 2 shown]
	v_add_f16_e32 v49, v44, v83
	v_add_f16_e32 v52, v78, v14
	v_sub_f16_e32 v53, v14, v15
	v_add_f16_e32 v14, v14, v15
	v_add_f16_e32 v54, v87, v60
	;; [unrolled: 1-line block ×5, first 2 shown]
	v_sub_f16_e32 v77, v12, v13
	v_fmac_f16_e32 v44, -0.5, v50
	v_add_f16_e32 v50, v82, v12
	v_add_f16_e32 v12, v12, v13
	v_sub_f16_e32 v51, v83, v85
	v_add_f16_e32 v55, v48, v87
	v_sub_f16_e32 v83, v10, v11
	v_sub_f16_e32 v84, v8, v9
	v_add_f16_e32 v49, v49, v85
	v_sub_f16_e32 v85, v6, v7
	v_add_f16_e32 v15, v52, v15
	v_add_f16_e32 v52, v81, v10
	;; [unrolled: 1-line block ×3, first 2 shown]
	v_fmac_f16_e32 v78, -0.5, v14
	v_add_f16_e32 v14, v79, v8
	v_add_f16_e32 v8, v8, v9
	v_fmac_f16_e32 v48, -0.5, v54
	v_add_f16_e32 v54, v80, v6
	v_add_f16_e32 v6, v6, v7
	;; [unrolled: 1-line block ×5, first 2 shown]
	v_sub_f16_e32 v87, v87, v60
	v_fmac_f16_e32 v47, -0.5, v56
	v_fmac_f16_e32 v46, -0.5, v73
	;; [unrolled: 1-line block ×4, first 2 shown]
	v_sub_f16_e32 v63, v63, v86
	v_sub_f16_e32 v57, v57, v58
	;; [unrolled: 1-line block ×3, first 2 shown]
	v_fmac_f16_e32 v81, -0.5, v10
	v_fmac_f16_e32 v79, -0.5, v8
	;; [unrolled: 1-line block ×3, first 2 shown]
	v_fmamk_f16 v6, v53, 0xbaee, v44
	v_fmac_f16_e32 v44, 0x3aee, v53
	v_fmamk_f16 v8, v51, 0x3aee, v78
	v_add_f16_e32 v55, v55, v60
	v_fmac_f16_e32 v78, 0xbaee, v51
	v_add_f16_e32 v13, v50, v13
	v_fmamk_f16 v10, v77, 0xbaee, v48
	v_add_f16_e32 v56, v64, v86
	v_add_f16_e32 v58, v74, v58
	;; [unrolled: 1-line block ×4, first 2 shown]
	v_fmac_f16_e32 v48, 0x3aee, v77
	v_fmamk_f16 v12, v83, 0xbaee, v47
	v_fmac_f16_e32 v47, 0x3aee, v83
	v_fmamk_f16 v14, v84, 0xbaee, v46
	;; [unrolled: 2-line block ×3, first 2 shown]
	v_fmac_f16_e32 v45, 0x3aee, v85
	ds_write_b16 v4, v49
	v_fmamk_f16 v49, v87, 0x3aee, v82
	v_add_f16_e32 v11, v52, v11
	v_add_f16_e32 v7, v54, v7
	v_fmac_f16_e32 v82, 0xbaee, v87
	v_fmamk_f16 v51, v63, 0x3aee, v81
	v_fmac_f16_e32 v81, 0xbaee, v63
	v_fmamk_f16 v52, v57, 0x3aee, v79
	v_fmac_f16_e32 v79, 0xbaee, v57
	v_fmamk_f16 v53, v65, 0x3aee, v80
	v_fmac_f16_e32 v80, 0xbaee, v65
	ds_write_b16 v4, v6 offset:30
	ds_write_b16 v4, v44 offset:60
	ds_write_b16 v43, v55
	ds_write_b16 v43, v10 offset:30
	ds_write_b16 v43, v48 offset:60
	ds_write_b16 v59, v56
	;; [unrolled: 3-line block ×4, first 2 shown]
	ds_write_b16 v62, v50 offset:30
	ds_write_b16 v62, v45 offset:60
	s_waitcnt lgkmcnt(0)
	s_barrier
	buffer_gl0_inv
	ds_read_u16 v44, v34
	ds_read_u16 v45, v33 offset:270
	ds_read_u16 v46, v33 offset:324
	;; [unrolled: 1-line block ×6, first 2 shown]
	ds_read_u16 v55, v37
	ds_read_u16 v56, v38
	ds_read_u16 v57, v33 offset:594
	ds_read_u16 v58, v33 offset:540
	;; [unrolled: 1-line block ×3, first 2 shown]
	ds_read_u16 v63, v36
	ds_read_u16 v64, v35
	ds_read_u16 v65, v33 offset:756
	s_waitcnt lgkmcnt(0)
	s_barrier
	buffer_gl0_inv
	ds_write_b16 v4, v15
	ds_write_b16 v4, v8 offset:30
	ds_write_b16 v4, v78 offset:60
	ds_write_b16 v43, v13
	ds_write_b16 v43, v49 offset:30
	ds_write_b16 v43, v82 offset:60
	;; [unrolled: 3-line block ×5, first 2 shown]
	v_and_b32_e32 v8, 0x7f, v69
	v_add_nc_u16 v9, v68, v71
	v_lshlrev_b32_e32 v4, 1, v70
	v_add_co_u32 v6, s0, s8, v66
	v_add_nc_u16 v8, v8, v3
	v_lshrrev_b16 v43, 5, v9
	v_mov_b32_e32 v3, v5
	v_add_co_ci_u32_e64 v7, s0, s9, v67, s0
	v_lshrrev_b16 v12, 5, v8
	v_lshlrev_b64 v[8:9], 2, v[4:5]
	v_mul_lo_u16 v13, v43, 45
	v_lshlrev_b64 v[2:3], 2, v[2:3]
	s_waitcnt lgkmcnt(0)
	v_mul_lo_u16 v12, v12, 45
	s_barrier
	v_add_co_u32 v8, s0, s8, v8
	v_sub_nc_u16 v49, v31, v13
	v_sub_nc_u16 v12, v32, v12
	v_add_co_ci_u32_e64 v9, s0, s9, v9, s0
	v_add_co_u32 v2, s0, s8, v2
	v_and_b32_e32 v51, 0xff, v12
	buffer_gl0_inv
	s_clause 0x1
	global_load_dwordx2 v[10:11], v[6:7], off offset:160
	global_load_dwordx2 v[8:9], v[8:9], off offset:160
	v_add_co_ci_u32_e64 v3, s0, s9, v3, s0
	v_lshlrev_b32_sdwa v12, v41, v49 dst_sel:DWORD dst_unused:UNUSED_PAD src0_sel:DWORD src1_sel:BYTE_0
	v_lshlrev_b32_e32 v14, 3, v51
	v_cmp_lt_u32_e64 s0, 17, v20
	s_clause 0x2
	global_load_dwordx2 v[2:3], v[2:3], off offset:160
	global_load_dwordx2 v[12:13], v12, s[8:9] offset:160
	global_load_dwordx2 v[14:15], v14, s[8:9] offset:160
	v_and_b32_e32 v43, 0xffff, v43
	v_cndmask_b32_e64 v41, 0, 0x10e, s0
	v_lshlrev_b32_sdwa v42, v42, v49 dst_sel:DWORD dst_unused:UNUSED_PAD src0_sel:DWORD src1_sel:BYTE_0
	v_lshl_add_u32 v51, v51, 1, v40
	v_mad_u32_u24 v43, 0x10e, v43, 0
	v_add_nc_u32_e32 v41, 0, v41
	v_add3_u32 v49, v43, v42, v39
	v_add3_u32 v4, v41, v4, v39
	ds_read_u16 v41, v33 offset:270
	ds_read_u16 v39, v33 offset:540
	;; [unrolled: 1-line block ×7, first 2 shown]
	ds_read_u16 v59, v34
	ds_read_u16 v61, v33 offset:648
	ds_read_u16 v62, v33 offset:702
	;; [unrolled: 1-line block ×3, first 2 shown]
	ds_read_u16 v67, v37
	ds_read_u16 v68, v38
	;; [unrolled: 1-line block ×4, first 2 shown]
	s_waitcnt vmcnt(0) lgkmcnt(0)
	s_barrier
	buffer_gl0_inv
	v_mul_f16_sdwa v71, v41, v10 dst_sel:DWORD dst_unused:UNUSED_PAD src0_sel:DWORD src1_sel:WORD_1
	v_mul_f16_sdwa v73, v39, v11 dst_sel:DWORD dst_unused:UNUSED_PAD src0_sel:DWORD src1_sel:WORD_1
	;; [unrolled: 1-line block ×5, first 2 shown]
	v_fmac_f16_e32 v71, v45, v10
	v_mul_f16_sdwa v74, v58, v11 dst_sel:DWORD dst_unused:UNUSED_PAD src0_sel:DWORD src1_sel:WORD_1
	v_mul_f16_sdwa v79, v43, v2 dst_sel:DWORD dst_unused:UNUSED_PAD src0_sel:DWORD src1_sel:WORD_1
	;; [unrolled: 1-line block ×8, first 2 shown]
	v_fmac_f16_e32 v73, v58, v11
	v_mul_f16_sdwa v78, v57, v9 dst_sel:DWORD dst_unused:UNUSED_PAD src0_sel:DWORD src1_sel:WORD_1
	v_mul_f16_sdwa v80, v47, v2 dst_sel:DWORD dst_unused:UNUSED_PAD src0_sel:DWORD src1_sel:WORD_1
	;; [unrolled: 1-line block ×6, first 2 shown]
	v_fma_f16 v10, v41, v10, -v72
	v_mul_f16_sdwa v41, v65, v15 dst_sel:DWORD dst_unused:UNUSED_PAD src0_sel:DWORD src1_sel:WORD_1
	v_fmac_f16_e32 v75, v46, v8
	v_fmac_f16_e32 v77, v57, v9
	;; [unrolled: 1-line block ×8, first 2 shown]
	v_fma_f16 v11, v39, v11, -v74
	v_fma_f16 v8, v40, v8, -v76
	v_add_f16_e32 v40, v71, v73
	v_fma_f16 v9, v42, v9, -v78
	v_fma_f16 v2, v43, v2, -v80
	;; [unrolled: 1-line block ×7, first 2 shown]
	v_add_f16_e32 v47, v75, v77
	v_add_f16_e32 v54, v79, v81
	;; [unrolled: 1-line block ×5, first 2 shown]
	v_sub_f16_e32 v41, v10, v11
	v_add_f16_e32 v42, v59, v10
	v_add_f16_e32 v10, v10, v11
	;; [unrolled: 1-line block ×4, first 2 shown]
	v_fmac_f16_e32 v44, -0.5, v40
	v_sub_f16_e32 v48, v8, v9
	v_add_f16_e32 v8, v8, v9
	v_sub_f16_e32 v52, v75, v77
	v_add_f16_e32 v53, v63, v79
	v_sub_f16_e32 v57, v2, v3
	v_add_f16_e32 v58, v69, v2
	v_add_f16_e32 v2, v2, v3
	v_add_f16_e32 v61, v55, v83
	v_sub_f16_e32 v65, v12, v13
	v_add_f16_e32 v66, v67, v12
	v_add_f16_e32 v12, v12, v13
	;; [unrolled: 1-line block ×3, first 2 shown]
	v_sub_f16_e32 v75, v14, v15
	v_add_f16_e32 v76, v68, v14
	v_add_f16_e32 v14, v14, v15
	v_fmac_f16_e32 v64, -0.5, v47
	v_fmac_f16_e32 v63, -0.5, v54
	;; [unrolled: 1-line block ×4, first 2 shown]
	v_sub_f16_e32 v43, v71, v73
	v_add_f16_e32 v39, v39, v73
	v_fmac_f16_e32 v59, -0.5, v10
	v_add_f16_e32 v10, v46, v77
	v_add_f16_e32 v46, v50, v9
	v_fmamk_f16 v9, v41, 0xbaee, v44
	v_fmac_f16_e32 v44, 0x3aee, v41
	v_add_f16_e32 v73, v42, v11
	v_fmac_f16_e32 v70, -0.5, v8
	v_add_f16_e32 v8, v53, v81
	v_add_f16_e32 v47, v58, v3
	v_fmac_f16_e32 v69, -0.5, v2
	v_add_f16_e32 v2, v61, v85
	;; [unrolled: 3-line block ×3, first 2 shown]
	v_fmac_f16_e32 v68, -0.5, v14
	v_fmamk_f16 v11, v48, 0xbaee, v64
	v_fmamk_f16 v12, v57, 0xbaee, v63
	;; [unrolled: 1-line block ×4, first 2 shown]
	v_sub_f16_e32 v78, v87, v45
	v_add_f16_e32 v45, v76, v15
	v_fmamk_f16 v53, v43, 0x3aee, v59
	v_fmac_f16_e32 v59, 0xbaee, v43
	v_fmac_f16_e32 v64, 0x3aee, v48
	;; [unrolled: 1-line block ×5, first 2 shown]
	ds_write_b16 v33, v39
	ds_write_b16 v33, v9 offset:90
	ds_write_b16 v33, v44 offset:180
	ds_write_b16 v4, v10
	ds_write_b16 v4, v11 offset:90
	ds_write_b16 v4, v64 offset:180
	;; [unrolled: 1-line block ×5, first 2 shown]
	ds_write_b16 v49, v2
	ds_write_b16 v49, v13 offset:90
	ds_write_b16 v49, v55 offset:180
	;; [unrolled: 1-line block ×5, first 2 shown]
	s_waitcnt lgkmcnt(0)
	s_barrier
	buffer_gl0_inv
	ds_read_u16 v2, v34
	ds_read_u16 v11, v33 offset:270
	ds_read_u16 v9, v33 offset:324
	;; [unrolled: 1-line block ×6, first 2 shown]
	ds_read_u16 v12, v37
	ds_read_u16 v39, v38
	ds_read_u16 v10, v33 offset:594
	ds_read_u16 v14, v33 offset:540
	;; [unrolled: 1-line block ×3, first 2 shown]
	ds_read_u16 v8, v36
	ds_read_u16 v3, v35
	ds_read_u16 v43, v33 offset:756
	v_sub_f16_e32 v60, v79, v81
	v_sub_f16_e32 v71, v83, v85
	v_fmamk_f16 v48, v52, 0x3aee, v70
	v_fmac_f16_e32 v70, 0xbaee, v52
	v_fmamk_f16 v57, v78, 0x3aee, v68
	v_fmamk_f16 v52, v60, 0x3aee, v69
	v_fmac_f16_e32 v69, 0xbaee, v60
	v_fmamk_f16 v54, v71, 0x3aee, v67
	v_fmac_f16_e32 v67, 0xbaee, v71
	v_fmac_f16_e32 v68, 0xbaee, v78
	s_waitcnt lgkmcnt(0)
	s_barrier
	buffer_gl0_inv
	ds_write_b16 v33, v73
	ds_write_b16 v33, v53 offset:90
	ds_write_b16 v33, v59 offset:180
	ds_write_b16 v4, v46
	ds_write_b16 v4, v48 offset:90
	ds_write_b16 v4, v70 offset:180
	;; [unrolled: 1-line block ×5, first 2 shown]
	ds_write_b16 v49, v50
	ds_write_b16 v49, v54 offset:90
	ds_write_b16 v49, v67 offset:180
	;; [unrolled: 1-line block ×5, first 2 shown]
	s_waitcnt lgkmcnt(0)
	s_barrier
	buffer_gl0_inv
	s_and_saveexec_b32 s0, vcc_lo
	s_cbranch_execz .LBB0_15
; %bb.14:
	v_lshlrev_b32_e32 v4, 1, v32
	v_mad_u64_u32 v[48:49], null, s2, v28, 0
	v_mad_u64_u32 v[50:51], null, s2, v27, 0
	v_lshlrev_b64 v[44:45], 2, v[4:5]
	v_lshlrev_b32_e32 v4, 1, v31
	v_mad_u64_u32 v[52:53], null, s2, v21, 0
	v_mad_u64_u32 v[58:59], null, s2, v23, 0
	v_add_co_u32 v31, vcc_lo, s8, v44
	v_add_co_ci_u32_e32 v32, vcc_lo, s9, v45, vcc_lo
	v_lshlrev_b64 v[44:45], 2, v[4:5]
	v_lshlrev_b32_e32 v4, 1, v29
	v_mad_u64_u32 v[60:61], null, s2, v22, 0
	global_load_dwordx2 v[31:32], v[31:32], off offset:520
	v_mad_u64_u32 v[54:55], null, s2, v26, 0
	v_lshlrev_b64 v[46:47], 2, v[4:5]
	v_lshlrev_b32_e32 v4, 1, v30
	v_add_co_u32 v44, vcc_lo, s8, v44
	v_add_co_ci_u32_e32 v45, vcc_lo, s9, v45, vcc_lo
	v_lshlrev_b64 v[4:5], 2, v[4:5]
	v_add_co_u32 v46, vcc_lo, s8, v46
	global_load_dwordx2 v[44:45], v[44:45], off offset:520
	v_add_co_ci_u32_e32 v47, vcc_lo, s9, v47, vcc_lo
	v_add_co_u32 v4, vcc_lo, s8, v4
	v_add_co_ci_u32_e32 v5, vcc_lo, s9, v5, vcc_lo
	s_clause 0x1
	global_load_dwordx2 v[46:47], v[46:47], off offset:520
	global_load_dwordx2 v[6:7], v[6:7], off offset:520
	v_mad_u64_u32 v[29:30], null, s2, v20, 0
	global_load_dwordx2 v[4:5], v[4:5], off offset:520
	v_mul_hi_u32 v71, 0xf2b9d649, v19
	ds_read_u16 v74, v38
	ds_read_u16 v75, v37
	;; [unrolled: 1-line block ×4, first 2 shown]
	ds_read_u16 v78, v33 offset:756
	ds_read_u16 v79, v33 offset:702
	;; [unrolled: 1-line block ×3, first 2 shown]
	v_mov_b32_e32 v35, v49
	v_mov_b32_e32 v36, v51
	v_mov_b32_e32 v37, v53
	v_add_co_u32 v72, vcc_lo, s12, v0
	v_mad_u64_u32 v[56:57], null, s2, v18, 0
	v_mad_u64_u32 v[62:63], null, s2, v17, 0
	;; [unrolled: 1-line block ×3, first 2 shown]
	v_mov_b32_e32 v51, v59
	v_mov_b32_e32 v53, v61
	v_add_co_ci_u32_e32 v73, vcc_lo, s13, v1, vcc_lo
	v_mad_u64_u32 v[0:1], null, s2, v25, 0
	v_mad_u64_u32 v[66:67], null, s2, v16, 0
	v_mov_b32_e32 v38, v55
	v_mov_b32_e32 v49, v57
	ds_read_u16 v81, v33 offset:594
	ds_read_u16 v82, v33 offset:540
	;; [unrolled: 1-line block ×7, first 2 shown]
	ds_read_u16 v88, v34
	s_waitcnt vmcnt(4)
	v_mad_u64_u32 v[68:69], null, s3, v20, v[30:31]
	v_mad_u64_u32 v[69:70], null, s3, v28, v[35:36]
	;; [unrolled: 1-line block ×3, first 2 shown]
	v_lshrrev_b32_e32 v28, 7, v71
	v_mad_u64_u32 v[70:71], null, s3, v23, v[51:52]
	v_mad_u64_u32 v[22:23], null, s3, v22, v[53:54]
	v_mov_b32_e32 v20, v63
	v_mad_u64_u32 v[35:36], null, s3, v21, v[37:38]
	v_mov_b32_e32 v21, v65
	v_mad_u32_u24 v71, 0x10e, v28, v19
	v_mad_u64_u32 v[36:37], null, s3, v25, v[1:2]
	v_mov_b32_e32 v1, v67
	v_mad_u64_u32 v[25:26], null, s3, v26, v[38:39]
	v_mad_u64_u32 v[37:38], null, s3, v18, v[49:50]
	;; [unrolled: 1-line block ×6, first 2 shown]
	v_mov_b32_e32 v30, v68
	v_add_nc_u32_e32 v68, 0x87, v71
	v_mov_b32_e32 v49, v69
	v_add_nc_u32_e32 v69, 0x10e, v71
	v_mov_b32_e32 v65, v20
	v_lshlrev_b64 v[20:21], 2, v[29:30]
	v_mov_b32_e32 v57, v37
	v_mov_b32_e32 v61, v22
	;; [unrolled: 1-line block ×5, first 2 shown]
	v_mad_u64_u32 v[16:17], null, s2, v68, 0
	v_mad_u64_u32 v[18:19], null, s2, v69, 0
	v_mov_b32_e32 v59, v70
	v_mov_b32_e32 v53, v35
	;; [unrolled: 1-line block ×3, first 2 shown]
	v_lshlrev_b64 v[35:36], 2, v[56:57]
	v_mad_u64_u32 v[56:57], null, s3, v71, v[22:23]
	v_add_co_u32 v20, vcc_lo, v72, v20
	v_lshlrev_b64 v[37:38], 2, v[58:59]
	v_mad_u64_u32 v[57:58], null, s3, v68, v[17:18]
	v_mad_u64_u32 v[58:59], null, s3, v69, v[19:20]
	v_mov_b32_e32 v51, v27
	v_mov_b32_e32 v55, v25
	v_lshlrev_b64 v[25:26], 2, v[48:49]
	v_mov_b32_e32 v24, v56
	v_add_co_ci_u32_e32 v21, vcc_lo, v73, v21, vcc_lo
	v_lshlrev_b64 v[27:28], 2, v[50:51]
	v_mov_b32_e32 v17, v57
	v_lshlrev_b64 v[22:23], 2, v[23:24]
	v_mov_b32_e32 v19, v58
	v_mul_f16_sdwa v24, v42, v31 dst_sel:DWORD dst_unused:UNUSED_PAD src0_sel:DWORD src1_sel:WORD_1
	v_mul_f16_sdwa v56, v43, v32 dst_sel:DWORD dst_unused:UNUSED_PAD src0_sel:DWORD src1_sel:WORD_1
	s_waitcnt lgkmcnt(5)
	v_mul_f16_sdwa v57, v83, v31 dst_sel:DWORD dst_unused:UNUSED_PAD src0_sel:DWORD src1_sel:WORD_1
	v_mul_f16_sdwa v58, v78, v32 dst_sel:DWORD dst_unused:UNUSED_PAD src0_sel:DWORD src1_sel:WORD_1
	v_lshlrev_b64 v[29:30], 2, v[52:53]
	v_add_co_u32 v25, vcc_lo, v72, v25
	v_add_co_ci_u32_e32 v26, vcc_lo, v73, v26, vcc_lo
	v_lshlrev_b64 v[0:1], 2, v[0:1]
	v_add_co_u32 v27, vcc_lo, v72, v27
	v_fma_f16 v24, v83, v31, -v24
	v_fma_f16 v56, v78, v32, -v56
	v_fmac_f16_e32 v57, v42, v31
	v_fmac_f16_e32 v58, v43, v32
	s_waitcnt vmcnt(3)
	v_mul_f16_sdwa v31, v40, v44 dst_sel:DWORD dst_unused:UNUSED_PAD src0_sel:DWORD src1_sel:WORD_1
	v_mul_f16_sdwa v32, v41, v45 dst_sel:DWORD dst_unused:UNUSED_PAD src0_sel:DWORD src1_sel:WORD_1
	s_waitcnt lgkmcnt(4)
	v_mul_f16_sdwa v42, v84, v44 dst_sel:DWORD dst_unused:UNUSED_PAD src0_sel:DWORD src1_sel:WORD_1
	v_mul_f16_sdwa v43, v79, v45 dst_sel:DWORD dst_unused:UNUSED_PAD src0_sel:DWORD src1_sel:WORD_1
	v_add_co_ci_u32_e32 v28, vcc_lo, v73, v28, vcc_lo
	v_lshlrev_b64 v[33:34], 2, v[54:55]
	v_add_co_u32 v29, vcc_lo, v72, v29
	v_add_co_ci_u32_e32 v30, vcc_lo, v73, v30, vcc_lo
	v_lshlrev_b64 v[48:49], 2, v[60:61]
	v_lshlrev_b64 v[50:51], 2, v[62:63]
	v_add_co_u32 v0, vcc_lo, v72, v0
	v_sub_f16_e32 v60, v57, v58
	v_add_f16_e32 v61, v74, v24
	v_add_f16_e32 v62, v57, v58
	;; [unrolled: 1-line block ×3, first 2 shown]
	v_fma_f16 v31, v84, v44, -v31
	v_fma_f16 v32, v79, v45, -v32
	v_fmac_f16_e32 v42, v40, v44
	v_fmac_f16_e32 v43, v41, v45
	s_waitcnt vmcnt(2)
	v_mul_f16_sdwa v40, v13, v46 dst_sel:DWORD dst_unused:UNUSED_PAD src0_sel:DWORD src1_sel:WORD_1
	v_mul_f16_sdwa v41, v15, v47 dst_sel:DWORD dst_unused:UNUSED_PAD src0_sel:DWORD src1_sel:WORD_1
	s_waitcnt lgkmcnt(3)
	v_mul_f16_sdwa v44, v85, v46 dst_sel:DWORD dst_unused:UNUSED_PAD src0_sel:DWORD src1_sel:WORD_1
	v_mul_f16_sdwa v45, v80, v47 dst_sel:DWORD dst_unused:UNUSED_PAD src0_sel:DWORD src1_sel:WORD_1
	v_lshlrev_b64 v[52:53], 2, v[64:65]
	v_lshlrev_b64 v[54:55], 2, v[66:67]
	v_add_co_ci_u32_e32 v1, vcc_lo, v73, v1, vcc_lo
	s_waitcnt vmcnt(1)
	v_mul_f16_sdwa v63, v11, v6 dst_sel:DWORD dst_unused:UNUSED_PAD src0_sel:DWORD src1_sel:WORD_1
	v_mul_f16_sdwa v64, v14, v7 dst_sel:DWORD dst_unused:UNUSED_PAD src0_sel:DWORD src1_sel:WORD_1
	s_waitcnt lgkmcnt(1)
	v_mul_f16_sdwa v65, v87, v6 dst_sel:DWORD dst_unused:UNUSED_PAD src0_sel:DWORD src1_sel:WORD_1
	v_mul_f16_sdwa v66, v82, v7 dst_sel:DWORD dst_unused:UNUSED_PAD src0_sel:DWORD src1_sel:WORD_1
	v_add_co_u32 v33, vcc_lo, v72, v33
	v_add_co_ci_u32_e32 v34, vcc_lo, v73, v34, vcc_lo
	v_add_f16_e32 v59, v24, v56
	v_sub_f16_e32 v24, v24, v56
	v_add_f16_e32 v56, v61, v56
	v_fma_f16 v39, -0.5, v62, v39
	v_add_f16_e32 v57, v57, v58
	v_add_f16_e32 v58, v31, v32
	v_sub_f16_e32 v61, v42, v43
	v_fma_f16 v40, v85, v46, -v40
	v_add_f16_e32 v62, v75, v31
	v_fma_f16 v41, v80, v47, -v41
	v_add_f16_e32 v67, v42, v43
	v_add_f16_e32 v42, v12, v42
	v_fmac_f16_e32 v44, v13, v46
	v_fmac_f16_e32 v45, v15, v47
	s_waitcnt vmcnt(0)
	v_mul_f16_sdwa v13, v9, v4 dst_sel:DWORD dst_unused:UNUSED_PAD src0_sel:DWORD src1_sel:WORD_1
	v_mul_f16_sdwa v15, v10, v5 dst_sel:DWORD dst_unused:UNUSED_PAD src0_sel:DWORD src1_sel:WORD_1
	;; [unrolled: 1-line block ×4, first 2 shown]
	v_add_co_u32 v35, vcc_lo, v72, v35
	v_fma_f16 v63, v87, v6, -v63
	v_fma_f16 v64, v82, v7, -v64
	v_fmac_f16_e32 v65, v11, v6
	v_fmac_f16_e32 v66, v14, v7
	v_add_co_ci_u32_e32 v36, vcc_lo, v73, v36, vcc_lo
	v_add_co_u32 v37, vcc_lo, v72, v37
	v_fma_f16 v59, -0.5, v59, v74
	v_sub_f16_e32 v31, v31, v32
	v_fmamk_f16 v7, v24, 0x3aee, v39
	v_fmac_f16_e32 v39, 0xbaee, v24
	v_fma_f16 v11, -0.5, v58, v75
	v_add_f16_e32 v14, v62, v32
	v_fma_f16 v12, -0.5, v67, v12
	v_add_f16_e32 v24, v42, v43
	v_add_f16_e32 v32, v40, v41
	;; [unrolled: 1-line block ×4, first 2 shown]
	v_fma_f16 v13, v86, v4, -v13
	v_fma_f16 v15, v81, v5, -v15
	v_fmac_f16_e32 v46, v9, v4
	v_fmac_f16_e32 v47, v10, v5
	v_add_co_ci_u32_e32 v38, vcc_lo, v73, v38, vcc_lo
	v_add_co_u32 v48, vcc_lo, v72, v48
	v_add_f16_e32 v4, v63, v64
	v_add_f16_e32 v10, v65, v66
	v_add_co_ci_u32_e32 v49, vcc_lo, v73, v49, vcc_lo
	v_sub_f16_e32 v42, v44, v45
	v_add_f16_e32 v44, v8, v44
	v_add_co_u32 v50, vcc_lo, v72, v50
	v_fmamk_f16 v6, v60, 0xbaee, v59
	v_fmac_f16_e32 v59, 0x3aee, v60
	v_sub_f16_e32 v40, v40, v41
	s_waitcnt lgkmcnt(0)
	v_add_f16_e32 v9, v88, v63
	v_add_f16_e32 v62, v2, v65
	v_pack_b32_f16 v56, v57, v56
	v_fmamk_f16 v57, v61, 0xbaee, v11
	v_fmac_f16_e32 v11, 0x3aee, v61
	v_fmamk_f16 v61, v31, 0x3aee, v12
	v_fmac_f16_e32 v12, 0xbaee, v31
	v_fma_f16 v31, -0.5, v32, v76
	v_add_f16_e32 v32, v43, v41
	v_fma_f16 v8, -0.5, v58, v8
	v_add_f16_e32 v43, v13, v15
	v_add_f16_e32 v58, v46, v47
	v_add_co_ci_u32_e32 v51, vcc_lo, v73, v51, vcc_lo
	v_sub_f16_e32 v5, v65, v66
	v_sub_f16_e32 v60, v63, v64
	v_fma_f16 v4, -0.5, v4, v88
	v_fma_f16 v2, -0.5, v10, v2
	v_add_co_u32 v52, vcc_lo, v72, v52
	v_add_f16_e32 v41, v44, v45
	v_sub_f16_e32 v44, v46, v47
	v_add_f16_e32 v45, v77, v13
	v_add_f16_e32 v46, v3, v46
	v_add_co_ci_u32_e32 v53, vcc_lo, v73, v53, vcc_lo
	v_sub_f16_e32 v13, v13, v15
	v_add_f16_e32 v9, v9, v64
	v_add_f16_e32 v10, v62, v66
	v_pack_b32_f16 v14, v24, v14
	v_pack_b32_f16 v24, v39, v59
	v_fmamk_f16 v39, v40, 0x3aee, v8
	v_fmac_f16_e32 v8, 0xbaee, v40
	v_fma_f16 v40, -0.5, v43, v77
	v_fma_f16 v3, -0.5, v58, v3
	v_add_co_u32 v54, vcc_lo, v72, v54
	v_lshlrev_b64 v[16:17], 2, v[16:17]
	v_fmamk_f16 v43, v5, 0xbaee, v4
	v_fmac_f16_e32 v4, 0x3aee, v5
	v_fmamk_f16 v5, v60, 0x3aee, v2
	v_fmac_f16_e32 v2, 0xbaee, v60
	v_add_co_ci_u32_e32 v55, vcc_lo, v73, v55, vcc_lo
	v_lshlrev_b64 v[18:19], 2, v[18:19]
	v_add_co_u32 v22, vcc_lo, v72, v22
	v_pack_b32_f16 v6, v7, v6
	v_fmamk_f16 v7, v42, 0xbaee, v31
	v_fmac_f16_e32 v31, 0x3aee, v42
	v_add_f16_e32 v15, v45, v15
	v_add_f16_e32 v42, v46, v47
	v_pack_b32_f16 v9, v10, v9
	v_pack_b32_f16 v10, v41, v32
	v_fmamk_f16 v32, v44, 0xbaee, v40
	v_fmac_f16_e32 v40, 0x3aee, v44
	v_fmamk_f16 v41, v13, 0x3aee, v3
	v_fmac_f16_e32 v3, 0xbaee, v13
	v_add_co_ci_u32_e32 v23, vcc_lo, v73, v23, vcc_lo
	v_add_co_u32 v16, vcc_lo, v72, v16
	v_pack_b32_f16 v2, v2, v4
	v_pack_b32_f16 v4, v5, v43
	v_add_co_ci_u32_e32 v17, vcc_lo, v73, v17, vcc_lo
	v_pack_b32_f16 v5, v42, v15
	v_add_co_u32 v18, vcc_lo, v72, v18
	v_pack_b32_f16 v3, v3, v40
	global_store_dword v[20:21], v9, off
	v_pack_b32_f16 v9, v41, v32
	v_add_co_ci_u32_e32 v19, vcc_lo, v73, v19, vcc_lo
	v_pack_b32_f16 v11, v12, v11
	v_pack_b32_f16 v12, v61, v57
	;; [unrolled: 1-line block ×4, first 2 shown]
	global_store_dword v[25:26], v2, off
	global_store_dword v[27:28], v4, off
	;; [unrolled: 1-line block ×14, first 2 shown]
.LBB0_15:
	s_endpgm
	.section	.rodata,"a",@progbits
	.p2align	6, 0x0
	.amdhsa_kernel fft_rtc_back_len405_factors_5_3_3_3_3_wgs_108_tpt_27_halfLds_half_ip_CI_sbrr_dirReg
		.amdhsa_group_segment_fixed_size 0
		.amdhsa_private_segment_fixed_size 0
		.amdhsa_kernarg_size 88
		.amdhsa_user_sgpr_count 6
		.amdhsa_user_sgpr_private_segment_buffer 1
		.amdhsa_user_sgpr_dispatch_ptr 0
		.amdhsa_user_sgpr_queue_ptr 0
		.amdhsa_user_sgpr_kernarg_segment_ptr 1
		.amdhsa_user_sgpr_dispatch_id 0
		.amdhsa_user_sgpr_flat_scratch_init 0
		.amdhsa_user_sgpr_private_segment_size 0
		.amdhsa_wavefront_size32 1
		.amdhsa_uses_dynamic_stack 0
		.amdhsa_system_sgpr_private_segment_wavefront_offset 0
		.amdhsa_system_sgpr_workgroup_id_x 1
		.amdhsa_system_sgpr_workgroup_id_y 0
		.amdhsa_system_sgpr_workgroup_id_z 0
		.amdhsa_system_sgpr_workgroup_info 0
		.amdhsa_system_vgpr_workitem_id 0
		.amdhsa_next_free_vgpr 91
		.amdhsa_next_free_sgpr 23
		.amdhsa_reserve_vcc 1
		.amdhsa_reserve_flat_scratch 0
		.amdhsa_float_round_mode_32 0
		.amdhsa_float_round_mode_16_64 0
		.amdhsa_float_denorm_mode_32 3
		.amdhsa_float_denorm_mode_16_64 3
		.amdhsa_dx10_clamp 1
		.amdhsa_ieee_mode 1
		.amdhsa_fp16_overflow 0
		.amdhsa_workgroup_processor_mode 1
		.amdhsa_memory_ordered 1
		.amdhsa_forward_progress 0
		.amdhsa_shared_vgpr_count 0
		.amdhsa_exception_fp_ieee_invalid_op 0
		.amdhsa_exception_fp_denorm_src 0
		.amdhsa_exception_fp_ieee_div_zero 0
		.amdhsa_exception_fp_ieee_overflow 0
		.amdhsa_exception_fp_ieee_underflow 0
		.amdhsa_exception_fp_ieee_inexact 0
		.amdhsa_exception_int_div_zero 0
	.end_amdhsa_kernel
	.text
.Lfunc_end0:
	.size	fft_rtc_back_len405_factors_5_3_3_3_3_wgs_108_tpt_27_halfLds_half_ip_CI_sbrr_dirReg, .Lfunc_end0-fft_rtc_back_len405_factors_5_3_3_3_3_wgs_108_tpt_27_halfLds_half_ip_CI_sbrr_dirReg
                                        ; -- End function
	.section	.AMDGPU.csdata,"",@progbits
; Kernel info:
; codeLenInByte = 10540
; NumSgprs: 25
; NumVgprs: 91
; ScratchSize: 0
; MemoryBound: 0
; FloatMode: 240
; IeeeMode: 1
; LDSByteSize: 0 bytes/workgroup (compile time only)
; SGPRBlocks: 3
; VGPRBlocks: 11
; NumSGPRsForWavesPerEU: 25
; NumVGPRsForWavesPerEU: 91
; Occupancy: 10
; WaveLimiterHint : 1
; COMPUTE_PGM_RSRC2:SCRATCH_EN: 0
; COMPUTE_PGM_RSRC2:USER_SGPR: 6
; COMPUTE_PGM_RSRC2:TRAP_HANDLER: 0
; COMPUTE_PGM_RSRC2:TGID_X_EN: 1
; COMPUTE_PGM_RSRC2:TGID_Y_EN: 0
; COMPUTE_PGM_RSRC2:TGID_Z_EN: 0
; COMPUTE_PGM_RSRC2:TIDIG_COMP_CNT: 0
	.text
	.p2alignl 6, 3214868480
	.fill 48, 4, 3214868480
	.type	__hip_cuid_95a0a8e3e8071f3d,@object ; @__hip_cuid_95a0a8e3e8071f3d
	.section	.bss,"aw",@nobits
	.globl	__hip_cuid_95a0a8e3e8071f3d
__hip_cuid_95a0a8e3e8071f3d:
	.byte	0                               ; 0x0
	.size	__hip_cuid_95a0a8e3e8071f3d, 1

	.ident	"AMD clang version 19.0.0git (https://github.com/RadeonOpenCompute/llvm-project roc-6.4.0 25133 c7fe45cf4b819c5991fe208aaa96edf142730f1d)"
	.section	".note.GNU-stack","",@progbits
	.addrsig
	.addrsig_sym __hip_cuid_95a0a8e3e8071f3d
	.amdgpu_metadata
---
amdhsa.kernels:
  - .args:
      - .actual_access:  read_only
        .address_space:  global
        .offset:         0
        .size:           8
        .value_kind:     global_buffer
      - .offset:         8
        .size:           8
        .value_kind:     by_value
      - .actual_access:  read_only
        .address_space:  global
        .offset:         16
        .size:           8
        .value_kind:     global_buffer
      - .actual_access:  read_only
        .address_space:  global
        .offset:         24
        .size:           8
        .value_kind:     global_buffer
      - .offset:         32
        .size:           8
        .value_kind:     by_value
      - .actual_access:  read_only
        .address_space:  global
        .offset:         40
        .size:           8
        .value_kind:     global_buffer
      - .actual_access:  read_only
        .address_space:  global
        .offset:         48
        .size:           8
        .value_kind:     global_buffer
      - .offset:         56
        .size:           4
        .value_kind:     by_value
      - .actual_access:  read_only
        .address_space:  global
        .offset:         64
        .size:           8
        .value_kind:     global_buffer
      - .actual_access:  read_only
        .address_space:  global
        .offset:         72
        .size:           8
        .value_kind:     global_buffer
      - .address_space:  global
        .offset:         80
        .size:           8
        .value_kind:     global_buffer
    .group_segment_fixed_size: 0
    .kernarg_segment_align: 8
    .kernarg_segment_size: 88
    .language:       OpenCL C
    .language_version:
      - 2
      - 0
    .max_flat_workgroup_size: 108
    .name:           fft_rtc_back_len405_factors_5_3_3_3_3_wgs_108_tpt_27_halfLds_half_ip_CI_sbrr_dirReg
    .private_segment_fixed_size: 0
    .sgpr_count:     25
    .sgpr_spill_count: 0
    .symbol:         fft_rtc_back_len405_factors_5_3_3_3_3_wgs_108_tpt_27_halfLds_half_ip_CI_sbrr_dirReg.kd
    .uniform_work_group_size: 1
    .uses_dynamic_stack: false
    .vgpr_count:     91
    .vgpr_spill_count: 0
    .wavefront_size: 32
    .workgroup_processor_mode: 1
amdhsa.target:   amdgcn-amd-amdhsa--gfx1030
amdhsa.version:
  - 1
  - 2
...

	.end_amdgpu_metadata
